;; amdgpu-corpus repo=ROCm/rocFFT kind=compiled arch=gfx906 opt=O3
	.text
	.amdgcn_target "amdgcn-amd-amdhsa--gfx906"
	.amdhsa_code_object_version 6
	.protected	fft_rtc_fwd_len392_factors_8_7_7_wgs_56_tpt_56_half_ip_CI_sbrr_dirReg ; -- Begin function fft_rtc_fwd_len392_factors_8_7_7_wgs_56_tpt_56_half_ip_CI_sbrr_dirReg
	.globl	fft_rtc_fwd_len392_factors_8_7_7_wgs_56_tpt_56_half_ip_CI_sbrr_dirReg
	.p2align	8
	.type	fft_rtc_fwd_len392_factors_8_7_7_wgs_56_tpt_56_half_ip_CI_sbrr_dirReg,@function
fft_rtc_fwd_len392_factors_8_7_7_wgs_56_tpt_56_half_ip_CI_sbrr_dirReg: ; @fft_rtc_fwd_len392_factors_8_7_7_wgs_56_tpt_56_half_ip_CI_sbrr_dirReg
; %bb.0:
	s_load_dwordx2 s[14:15], s[4:5], 0x18
	s_load_dwordx4 s[8:11], s[4:5], 0x0
	s_load_dwordx2 s[12:13], s[4:5], 0x50
	v_mul_u32_u24_e32 v1, 0x493, v0
	v_add_u32_sdwa v5, s6, v1 dst_sel:DWORD dst_unused:UNUSED_PAD src0_sel:DWORD src1_sel:WORD_1
	s_waitcnt lgkmcnt(0)
	s_load_dwordx2 s[2:3], s[14:15], 0x0
	v_cmp_lt_u64_e64 s[0:1], s[10:11], 2
	v_mov_b32_e32 v3, 0
	v_mov_b32_e32 v1, 0
	;; [unrolled: 1-line block ×3, first 2 shown]
	s_and_b64 vcc, exec, s[0:1]
	v_mov_b32_e32 v2, 0
	s_cbranch_vccnz .LBB0_8
; %bb.1:
	s_load_dwordx2 s[0:1], s[4:5], 0x10
	s_add_u32 s6, s14, 8
	s_addc_u32 s7, s15, 0
	v_mov_b32_e32 v1, 0
	v_mov_b32_e32 v2, 0
	s_waitcnt lgkmcnt(0)
	s_add_u32 s16, s0, 8
	s_addc_u32 s17, s1, 0
	s_mov_b64 s[18:19], 1
.LBB0_2:                                ; =>This Inner Loop Header: Depth=1
	s_load_dwordx2 s[20:21], s[16:17], 0x0
                                        ; implicit-def: $vgpr7_vgpr8
	s_waitcnt lgkmcnt(0)
	v_or_b32_e32 v4, s21, v6
	v_cmp_ne_u64_e32 vcc, 0, v[3:4]
	s_and_saveexec_b64 s[0:1], vcc
	s_xor_b64 s[22:23], exec, s[0:1]
	s_cbranch_execz .LBB0_4
; %bb.3:                                ;   in Loop: Header=BB0_2 Depth=1
	v_cvt_f32_u32_e32 v4, s20
	v_cvt_f32_u32_e32 v7, s21
	s_sub_u32 s0, 0, s20
	s_subb_u32 s1, 0, s21
	v_mac_f32_e32 v4, 0x4f800000, v7
	v_rcp_f32_e32 v4, v4
	v_mul_f32_e32 v4, 0x5f7ffffc, v4
	v_mul_f32_e32 v7, 0x2f800000, v4
	v_trunc_f32_e32 v7, v7
	v_mac_f32_e32 v4, 0xcf800000, v7
	v_cvt_u32_f32_e32 v7, v7
	v_cvt_u32_f32_e32 v4, v4
	v_mul_lo_u32 v8, s0, v7
	v_mul_hi_u32 v9, s0, v4
	v_mul_lo_u32 v11, s1, v4
	v_mul_lo_u32 v10, s0, v4
	v_add_u32_e32 v8, v9, v8
	v_add_u32_e32 v8, v8, v11
	v_mul_hi_u32 v9, v4, v10
	v_mul_lo_u32 v11, v4, v8
	v_mul_hi_u32 v13, v4, v8
	v_mul_hi_u32 v12, v7, v10
	v_mul_lo_u32 v10, v7, v10
	v_mul_hi_u32 v14, v7, v8
	v_add_co_u32_e32 v9, vcc, v9, v11
	v_addc_co_u32_e32 v11, vcc, 0, v13, vcc
	v_mul_lo_u32 v8, v7, v8
	v_add_co_u32_e32 v9, vcc, v9, v10
	v_addc_co_u32_e32 v9, vcc, v11, v12, vcc
	v_addc_co_u32_e32 v10, vcc, 0, v14, vcc
	v_add_co_u32_e32 v8, vcc, v9, v8
	v_addc_co_u32_e32 v9, vcc, 0, v10, vcc
	v_add_co_u32_e32 v4, vcc, v4, v8
	v_addc_co_u32_e32 v7, vcc, v7, v9, vcc
	v_mul_lo_u32 v8, s0, v7
	v_mul_hi_u32 v9, s0, v4
	v_mul_lo_u32 v10, s1, v4
	v_mul_lo_u32 v11, s0, v4
	v_add_u32_e32 v8, v9, v8
	v_add_u32_e32 v8, v8, v10
	v_mul_lo_u32 v12, v4, v8
	v_mul_hi_u32 v13, v4, v11
	v_mul_hi_u32 v14, v4, v8
	;; [unrolled: 1-line block ×3, first 2 shown]
	v_mul_lo_u32 v11, v7, v11
	v_mul_hi_u32 v9, v7, v8
	v_add_co_u32_e32 v12, vcc, v13, v12
	v_addc_co_u32_e32 v13, vcc, 0, v14, vcc
	v_mul_lo_u32 v8, v7, v8
	v_add_co_u32_e32 v11, vcc, v12, v11
	v_addc_co_u32_e32 v10, vcc, v13, v10, vcc
	v_addc_co_u32_e32 v9, vcc, 0, v9, vcc
	v_add_co_u32_e32 v8, vcc, v10, v8
	v_addc_co_u32_e32 v9, vcc, 0, v9, vcc
	v_add_co_u32_e32 v4, vcc, v4, v8
	v_addc_co_u32_e32 v9, vcc, v7, v9, vcc
	v_mad_u64_u32 v[7:8], s[0:1], v5, v9, 0
	v_mul_hi_u32 v10, v5, v4
	v_add_co_u32_e32 v11, vcc, v10, v7
	v_addc_co_u32_e32 v12, vcc, 0, v8, vcc
	v_mad_u64_u32 v[7:8], s[0:1], v6, v4, 0
	v_mad_u64_u32 v[9:10], s[0:1], v6, v9, 0
	v_add_co_u32_e32 v4, vcc, v11, v7
	v_addc_co_u32_e32 v4, vcc, v12, v8, vcc
	v_addc_co_u32_e32 v7, vcc, 0, v10, vcc
	v_add_co_u32_e32 v4, vcc, v4, v9
	v_addc_co_u32_e32 v9, vcc, 0, v7, vcc
	v_mul_lo_u32 v10, s21, v4
	v_mul_lo_u32 v11, s20, v9
	v_mad_u64_u32 v[7:8], s[0:1], s20, v4, 0
	v_add3_u32 v8, v8, v11, v10
	v_sub_u32_e32 v10, v6, v8
	v_mov_b32_e32 v11, s21
	v_sub_co_u32_e32 v7, vcc, v5, v7
	v_subb_co_u32_e64 v10, s[0:1], v10, v11, vcc
	v_subrev_co_u32_e64 v11, s[0:1], s20, v7
	v_subbrev_co_u32_e64 v10, s[0:1], 0, v10, s[0:1]
	v_cmp_le_u32_e64 s[0:1], s21, v10
	v_cndmask_b32_e64 v12, 0, -1, s[0:1]
	v_cmp_le_u32_e64 s[0:1], s20, v11
	v_cndmask_b32_e64 v11, 0, -1, s[0:1]
	v_cmp_eq_u32_e64 s[0:1], s21, v10
	v_cndmask_b32_e64 v10, v12, v11, s[0:1]
	v_add_co_u32_e64 v11, s[0:1], 2, v4
	v_addc_co_u32_e64 v12, s[0:1], 0, v9, s[0:1]
	v_add_co_u32_e64 v13, s[0:1], 1, v4
	v_addc_co_u32_e64 v14, s[0:1], 0, v9, s[0:1]
	v_subb_co_u32_e32 v8, vcc, v6, v8, vcc
	v_cmp_ne_u32_e64 s[0:1], 0, v10
	v_cmp_le_u32_e32 vcc, s21, v8
	v_cndmask_b32_e64 v10, v14, v12, s[0:1]
	v_cndmask_b32_e64 v12, 0, -1, vcc
	v_cmp_le_u32_e32 vcc, s20, v7
	v_cndmask_b32_e64 v7, 0, -1, vcc
	v_cmp_eq_u32_e32 vcc, s21, v8
	v_cndmask_b32_e32 v7, v12, v7, vcc
	v_cmp_ne_u32_e32 vcc, 0, v7
	v_cndmask_b32_e64 v7, v13, v11, s[0:1]
	v_cndmask_b32_e32 v8, v9, v10, vcc
	v_cndmask_b32_e32 v7, v4, v7, vcc
.LBB0_4:                                ;   in Loop: Header=BB0_2 Depth=1
	s_andn2_saveexec_b64 s[0:1], s[22:23]
	s_cbranch_execz .LBB0_6
; %bb.5:                                ;   in Loop: Header=BB0_2 Depth=1
	v_cvt_f32_u32_e32 v4, s20
	s_sub_i32 s22, 0, s20
	v_rcp_iflag_f32_e32 v4, v4
	v_mul_f32_e32 v4, 0x4f7ffffe, v4
	v_cvt_u32_f32_e32 v4, v4
	v_mul_lo_u32 v7, s22, v4
	v_mul_hi_u32 v7, v4, v7
	v_add_u32_e32 v4, v4, v7
	v_mul_hi_u32 v4, v5, v4
	v_mul_lo_u32 v7, v4, s20
	v_add_u32_e32 v8, 1, v4
	v_sub_u32_e32 v7, v5, v7
	v_subrev_u32_e32 v9, s20, v7
	v_cmp_le_u32_e32 vcc, s20, v7
	v_cndmask_b32_e32 v7, v7, v9, vcc
	v_cndmask_b32_e32 v4, v4, v8, vcc
	v_add_u32_e32 v8, 1, v4
	v_cmp_le_u32_e32 vcc, s20, v7
	v_cndmask_b32_e32 v7, v4, v8, vcc
	v_mov_b32_e32 v8, v3
.LBB0_6:                                ;   in Loop: Header=BB0_2 Depth=1
	s_or_b64 exec, exec, s[0:1]
	v_mul_lo_u32 v4, v8, s20
	v_mul_lo_u32 v11, v7, s21
	v_mad_u64_u32 v[9:10], s[0:1], v7, s20, 0
	s_load_dwordx2 s[0:1], s[6:7], 0x0
	s_add_u32 s18, s18, 1
	v_add3_u32 v4, v10, v11, v4
	v_sub_co_u32_e32 v5, vcc, v5, v9
	v_subb_co_u32_e32 v4, vcc, v6, v4, vcc
	s_waitcnt lgkmcnt(0)
	v_mul_lo_u32 v4, s0, v4
	v_mul_lo_u32 v6, s1, v5
	v_mad_u64_u32 v[1:2], s[0:1], s0, v5, v[1:2]
	s_addc_u32 s19, s19, 0
	s_add_u32 s6, s6, 8
	v_add3_u32 v2, v6, v2, v4
	v_mov_b32_e32 v4, s10
	v_mov_b32_e32 v5, s11
	s_addc_u32 s7, s7, 0
	v_cmp_ge_u64_e32 vcc, s[18:19], v[4:5]
	s_add_u32 s16, s16, 8
	s_addc_u32 s17, s17, 0
	s_cbranch_vccnz .LBB0_9
; %bb.7:                                ;   in Loop: Header=BB0_2 Depth=1
	v_mov_b32_e32 v5, v7
	v_mov_b32_e32 v6, v8
	s_branch .LBB0_2
.LBB0_8:
	v_mov_b32_e32 v8, v6
	v_mov_b32_e32 v7, v5
.LBB0_9:
	s_lshl_b64 s[0:1], s[10:11], 3
	s_add_u32 s0, s14, s0
	s_addc_u32 s1, s15, s1
	s_load_dwordx2 s[6:7], s[0:1], 0x0
	s_load_dwordx2 s[10:11], s[4:5], 0x20
	s_waitcnt lgkmcnt(0)
	v_mad_u64_u32 v[1:2], s[0:1], s6, v7, v[1:2]
	s_mov_b32 s0, 0x4924925
	v_mul_lo_u32 v3, s6, v8
	v_mul_lo_u32 v4, s7, v7
	v_mul_hi_u32 v5, v0, s0
	v_cmp_gt_u64_e32 vcc, s[10:11], v[7:8]
	v_add3_u32 v2, v4, v2, v3
	v_mul_u32_u24_e32 v3, 56, v5
	v_sub_u32_e32 v11, v0, v3
	v_lshlrev_b64 v[0:1], 2, v[1:2]
	v_lshl_add_u32 v10, v11, 2, 0
	v_add_u32_e32 v12, 56, v11
	s_and_saveexec_b64 s[4:5], vcc
	s_cbranch_execz .LBB0_11
; %bb.10:
	v_mad_u64_u32 v[2:3], s[0:1], s2, v11, 0
	v_mov_b32_e32 v6, s13
	v_add_u32_e32 v8, 0x70, v11
	v_mad_u64_u32 v[3:4], s[0:1], s3, v11, v[3:4]
	v_mad_u64_u32 v[4:5], s[0:1], s2, v12, 0
	v_add_co_u32_e64 v21, s[0:1], s12, v0
	v_addc_co_u32_e64 v22, s[0:1], v6, v1, s[0:1]
	v_mad_u64_u32 v[5:6], s[0:1], s3, v12, v[5:6]
	v_mad_u64_u32 v[6:7], s[0:1], s2, v8, 0
	v_lshlrev_b64 v[2:3], 2, v[2:3]
	v_add_u32_e32 v13, 0xa8, v11
	v_add_co_u32_e64 v2, s[0:1], v21, v2
	v_addc_co_u32_e64 v3, s[0:1], v22, v3, s[0:1]
	v_mad_u64_u32 v[7:8], s[0:1], s3, v8, v[7:8]
	v_mad_u64_u32 v[8:9], s[0:1], s2, v13, 0
	v_lshlrev_b64 v[4:5], 2, v[4:5]
	v_add_u32_e32 v16, 0xe0, v11
	v_add_co_u32_e64 v4, s[0:1], v21, v4
	v_addc_co_u32_e64 v5, s[0:1], v22, v5, s[0:1]
	v_mad_u64_u32 v[13:14], s[0:1], s3, v13, v[9:10]
	v_mad_u64_u32 v[14:15], s[0:1], s2, v16, 0
	v_lshlrev_b64 v[6:7], 2, v[6:7]
	v_mov_b32_e32 v9, v13
	v_add_co_u32_e64 v6, s[0:1], v21, v6
	v_mov_b32_e32 v13, v15
	v_addc_co_u32_e64 v7, s[0:1], v22, v7, s[0:1]
	v_mad_u64_u32 v[15:16], s[0:1], s3, v16, v[13:14]
	v_add_u32_e32 v18, 0x118, v11
	v_mad_u64_u32 v[16:17], s[0:1], s2, v18, 0
	v_lshlrev_b64 v[8:9], 2, v[8:9]
	v_lshlrev_b64 v[13:14], 2, v[14:15]
	v_add_co_u32_e64 v8, s[0:1], v21, v8
	v_mov_b32_e32 v15, v17
	v_addc_co_u32_e64 v9, s[0:1], v22, v9, s[0:1]
	v_mad_u64_u32 v[17:18], s[0:1], s3, v18, v[15:16]
	v_add_u32_e32 v20, 0x150, v11
	v_mad_u64_u32 v[18:19], s[0:1], s2, v20, 0
	v_add_co_u32_e64 v13, s[0:1], v21, v13
	v_lshlrev_b64 v[15:16], 2, v[16:17]
	v_mov_b32_e32 v17, v19
	v_addc_co_u32_e64 v14, s[0:1], v22, v14, s[0:1]
	v_mad_u64_u32 v[19:20], s[0:1], s3, v20, v[17:18]
	v_add_co_u32_e64 v15, s[0:1], v21, v15
	v_lshlrev_b64 v[17:18], 2, v[18:19]
	v_addc_co_u32_e64 v16, s[0:1], v22, v16, s[0:1]
	v_add_co_u32_e64 v17, s[0:1], v21, v17
	v_addc_co_u32_e64 v18, s[0:1], v22, v18, s[0:1]
	global_load_dword v19, v[2:3], off
	global_load_dword v20, v[4:5], off
	;; [unrolled: 1-line block ×7, first 2 shown]
	v_add_u32_e32 v2, 0x200, v10
	s_waitcnt vmcnt(5)
	ds_write2_b32 v10, v19, v20 offset1:56
	s_waitcnt vmcnt(3)
	ds_write2_b32 v10, v21, v22 offset0:112 offset1:168
	s_waitcnt vmcnt(1)
	ds_write2_b32 v2, v23, v24 offset0:96 offset1:152
	s_waitcnt vmcnt(0)
	ds_write_b32 v10, v25 offset:1344
.LBB0_11:
	s_or_b64 exec, exec, s[4:5]
	s_waitcnt lgkmcnt(0)
	; wave barrier
	s_waitcnt lgkmcnt(0)
	ds_read2_b32 v[2:3], v10 offset1:49
	ds_read2_b32 v[4:5], v10 offset0:98 offset1:147
	ds_read2_b32 v[6:7], v10 offset0:196 offset1:245
	v_add_u32_e32 v8, 0x400, v10
	ds_read2_b32 v[8:9], v8 offset0:38 offset1:87
	v_cmp_gt_u32_e64 s[0:1], 49, v11
	s_waitcnt lgkmcnt(0)
	; wave barrier
	s_waitcnt lgkmcnt(0)
	s_and_saveexec_b64 s[4:5], s[0:1]
	s_cbranch_execz .LBB0_13
; %bb.12:
	v_pk_add_f16 v6, v2, v6 neg_lo:[0,1] neg_hi:[0,1]
	v_pk_add_f16 v8, v4, v8 neg_lo:[0,1] neg_hi:[0,1]
	;; [unrolled: 1-line block ×4, first 2 shown]
	v_sub_f16_sdwa v13, v6, v8 dst_sel:DWORD dst_unused:UNUSED_PAD src0_sel:DWORD src1_sel:WORD_1
	v_sub_f16_sdwa v14, v7, v9 dst_sel:DWORD dst_unused:UNUSED_PAD src0_sel:DWORD src1_sel:WORD_1
	s_movk_i32 s0, 0x39a8
	v_lshrrev_b32_e32 v16, 16, v7
	v_lshrrev_b32_e32 v19, 16, v6
	v_fma_f16 v15, v14, s0, v13
	v_add_f16_e32 v17, v16, v9
	s_mov_b32 s1, 0xb9a8
	v_add_f16_e32 v20, v19, v8
	v_fma_f16 v15, v17, s1, v15
	v_fma_f16 v21, v17, s0, v20
	v_fma_f16 v18, v13, 2.0, -v15
	v_fma_f16 v21, v14, s0, v21
	v_fma_f16 v13, v6, 2.0, -v13
	v_fma_f16 v14, v7, 2.0, -v14
	;; [unrolled: 1-line block ×3, first 2 shown]
	v_fma_f16 v17, v14, s1, v13
	v_fma_f16 v19, v19, 2.0, -v20
	v_pk_fma_f16 v2, v2, 2.0, v6 op_sel_hi:[1,0,1] neg_lo:[0,0,1] neg_hi:[0,0,1]
	v_pk_fma_f16 v4, v4, 2.0, v8 op_sel_hi:[1,0,1] neg_lo:[0,0,1] neg_hi:[0,0,1]
	;; [unrolled: 1-line block ×4, first 2 shown]
	v_fma_f16 v17, v16, s1, v17
	v_fma_f16 v16, v16, s1, v19
	v_pk_add_f16 v4, v2, v4 neg_lo:[0,1] neg_hi:[0,1]
	v_pk_add_f16 v5, v3, v5 neg_lo:[0,1] neg_hi:[0,1]
	v_fma_f16 v14, v14, s0, v16
	v_lshrrev_b32_e32 v7, 16, v4
	v_pk_fma_f16 v2, v2, 2.0, v4 op_sel_hi:[1,0,1] neg_lo:[0,0,1] neg_hi:[0,0,1]
	v_pk_fma_f16 v3, v3, 2.0, v5 op_sel_hi:[1,0,1] neg_lo:[0,0,1] neg_hi:[0,0,1]
	v_fma_f16 v13, v13, 2.0, -v17
	v_fma_f16 v16, v19, 2.0, -v14
	v_sub_f16_sdwa v6, v4, v5 dst_sel:DWORD dst_unused:UNUSED_PAD src0_sel:DWORD src1_sel:WORD_1
	v_add_f16_e32 v8, v7, v5
	v_pk_add_f16 v3, v2, v3 neg_lo:[0,1] neg_hi:[0,1]
	v_fma_f16 v22, v20, 2.0, -v21
	v_mad_u32_u24 v19, v11, 28, v10
	v_fma_f16 v4, v4, 2.0, -v6
	v_fma_f16 v5, v7, 2.0, -v8
	v_pk_fma_f16 v2, v2, 2.0, v3 op_sel_hi:[1,0,1] neg_lo:[0,0,1] neg_hi:[0,0,1]
	v_pack_b32_f16 v7, v13, v16
	ds_write2_b32 v19, v2, v7 offset1:1
	v_pack_b32_f16 v2, v18, v22
	v_pack_b32_f16 v4, v4, v5
	ds_write2_b32 v19, v4, v2 offset0:2 offset1:3
	v_pack_b32_f16 v2, v17, v14
	ds_write2_b32 v19, v3, v2 offset0:4 offset1:5
	v_pack_b32_f16 v2, v15, v21
	v_pack_b32_f16 v3, v6, v8
	ds_write2_b32 v19, v3, v2 offset0:6 offset1:7
.LBB0_13:
	s_or_b64 exec, exec, s[4:5]
	v_and_b32_e32 v9, 7, v11
	v_mul_u32_u24_e32 v2, 6, v9
	v_lshlrev_b32_e32 v2, 2, v2
	s_waitcnt lgkmcnt(0)
	; wave barrier
	s_waitcnt lgkmcnt(0)
	global_load_dwordx4 v[3:6], v2, s[8:9]
	global_load_dwordx2 v[7:8], v2, s[8:9] offset:16
	v_add_u32_e32 v2, 0x200, v10
	ds_read2_b32 v[13:14], v10 offset0:112 offset1:168
	ds_read2_b32 v[15:16], v10 offset1:56
	ds_read_b32 v19, v10 offset:1344
	ds_read2_b32 v[17:18], v2 offset0:96 offset1:152
	s_movk_i32 s0, 0x2b26
	s_waitcnt lgkmcnt(3)
	v_lshrrev_b32_e32 v20, 16, v13
	v_lshrrev_b32_e32 v21, 16, v14
	s_waitcnt lgkmcnt(2)
	v_lshrrev_b32_e32 v22, 16, v16
	s_waitcnt lgkmcnt(1)
	;; [unrolled: 2-line block ×3, first 2 shown]
	v_lshrrev_b32_e32 v24, 16, v17
	v_lshrrev_b32_e32 v25, 16, v18
	s_movk_i32 s1, 0x39e0
	s_mov_b32 s4, 0xb9e0
	s_movk_i32 s7, 0x3b00
	s_movk_i32 s10, 0x3574
	s_mov_b32 s11, 0xb574
	s_mov_b32 s5, 0xbcab
	s_movk_i32 s6, 0x370e
	s_waitcnt lgkmcnt(0)
	; wave barrier
	s_waitcnt vmcnt(1)
	v_mul_f16_sdwa v26, v4, v20 dst_sel:DWORD dst_unused:UNUSED_PAD src0_sel:WORD_1 src1_sel:DWORD
	v_mul_f16_sdwa v27, v4, v13 dst_sel:DWORD dst_unused:UNUSED_PAD src0_sel:WORD_1 src1_sel:DWORD
	v_mul_f16_sdwa v28, v5, v21 dst_sel:DWORD dst_unused:UNUSED_PAD src0_sel:WORD_1 src1_sel:DWORD
	v_mul_f16_sdwa v29, v5, v14 dst_sel:DWORD dst_unused:UNUSED_PAD src0_sel:WORD_1 src1_sel:DWORD
	v_mul_f16_sdwa v30, v3, v16 dst_sel:DWORD dst_unused:UNUSED_PAD src0_sel:WORD_1 src1_sel:DWORD
	v_mul_f16_sdwa v31, v3, v22 dst_sel:DWORD dst_unused:UNUSED_PAD src0_sel:WORD_1 src1_sel:DWORD
	v_mul_f16_sdwa v32, v6, v17 dst_sel:DWORD dst_unused:UNUSED_PAD src0_sel:WORD_1 src1_sel:DWORD
	v_mul_f16_sdwa v33, v6, v24 dst_sel:DWORD dst_unused:UNUSED_PAD src0_sel:WORD_1 src1_sel:DWORD
	s_waitcnt vmcnt(0)
	v_mul_f16_sdwa v34, v7, v25 dst_sel:DWORD dst_unused:UNUSED_PAD src0_sel:WORD_1 src1_sel:DWORD
	v_fma_f16 v13, v4, v13, -v26
	v_fma_f16 v14, v5, v14, -v28
	v_mul_f16_sdwa v26, v7, v18 dst_sel:DWORD dst_unused:UNUSED_PAD src0_sel:WORD_1 src1_sel:DWORD
	v_mul_f16_sdwa v28, v8, v23 dst_sel:DWORD dst_unused:UNUSED_PAD src0_sel:WORD_1 src1_sel:DWORD
	v_fma_f16 v4, v4, v20, v27
	v_mul_f16_sdwa v20, v8, v19 dst_sel:DWORD dst_unused:UNUSED_PAD src0_sel:WORD_1 src1_sel:DWORD
	v_fma_f16 v5, v5, v21, v29
	v_fma_f16 v21, v3, v22, v30
	;; [unrolled: 1-line block ×3, first 2 shown]
	v_fma_f16 v3, v3, v16, -v31
	v_fma_f16 v6, v6, v17, -v33
	;; [unrolled: 1-line block ×3, first 2 shown]
	v_fma_f16 v7, v7, v25, v26
	v_fma_f16 v17, v8, v19, -v28
	v_fma_f16 v8, v8, v23, v20
	v_add_f16_e32 v18, v3, v17
	v_add_f16_e32 v19, v21, v8
	v_sub_f16_e32 v3, v3, v17
	v_add_f16_e32 v17, v13, v16
	v_add_f16_e32 v20, v4, v7
	v_sub_f16_e32 v13, v13, v16
	v_sub_f16_e32 v4, v4, v7
	v_add_f16_e32 v7, v14, v6
	v_add_f16_e32 v16, v5, v22
	v_sub_f16_e32 v8, v21, v8
	v_sub_f16_e32 v6, v6, v14
	v_sub_f16_e32 v5, v22, v5
	v_add_f16_e32 v14, v17, v18
	v_sub_f16_e32 v21, v17, v18
	v_sub_f16_e32 v18, v18, v7
	v_sub_f16_e32 v17, v7, v17
	;; [unrolled: 4-line block ×3, first 2 shown]
	v_add_f16_e32 v24, v6, v13
	v_sub_f16_e32 v25, v6, v13
	v_sub_f16_e32 v13, v13, v3
	v_add_f16_e32 v7, v7, v14
	v_add_f16_e32 v14, v16, v22
	v_mul_f16_e32 v16, 0x3a52, v18
	v_mul_f16_e32 v18, 0x2b26, v17
	;; [unrolled: 1-line block ×4, first 2 shown]
	v_sub_f16_e32 v6, v3, v6
	v_add_f16_e32 v26, v5, v4
	v_sub_f16_e32 v27, v5, v4
	v_sub_f16_e32 v4, v4, v8
	v_fma_f16 v17, v17, s0, v16
	v_fma_f16 v18, v21, s1, -v18
	v_fma_f16 v16, v21, s4, -v16
	v_fma_f16 v20, v20, s0, v19
	v_fma_f16 v21, v23, s1, -v22
	v_fma_f16 v19, v23, s4, -v19
	v_mul_f16_e32 v22, 0xb846, v25
	v_mul_f16_e32 v23, 0x3b00, v13
	v_sub_f16_e32 v5, v8, v5
	v_add_f16_e32 v3, v24, v3
	v_add_f16_e32 v24, v7, v15
	v_add_f16_sdwa v15, v14, v15 dst_sel:DWORD dst_unused:UNUSED_PAD src0_sel:DWORD src1_sel:WORD_1
	v_fma_f16 v13, v13, s7, -v22
	v_fma_f16 v22, v6, s10, v22
	v_fma_f16 v6, v6, s11, -v23
	v_mul_f16_e32 v23, 0xb846, v27
	v_mul_f16_e32 v25, 0x3b00, v4
	v_add_f16_e32 v8, v26, v8
	v_fma_f16 v4, v4, s7, -v23
	v_fma_f16 v23, v5, s10, v23
	v_fma_f16 v5, v5, s11, -v25
	v_fma_f16 v7, v7, s5, v24
	v_fma_f16 v14, v14, s5, v15
	v_add_f16_e32 v17, v17, v7
	v_add_f16_e32 v18, v18, v7
	;; [unrolled: 1-line block ×6, first 2 shown]
	v_fma_f16 v19, v3, s6, v22
	v_fma_f16 v13, v3, s6, v13
	;; [unrolled: 1-line block ×6, first 2 shown]
	v_sub_f16_e32 v8, v18, v4
	v_add_f16_e32 v4, v4, v18
	v_add_f16_e32 v18, v13, v20
	v_sub_f16_e32 v13, v20, v13
	v_add_f16_e32 v20, v5, v7
	v_sub_f16_e32 v5, v7, v5
	v_sub_f16_e32 v7, v14, v3
	v_add_f16_e32 v3, v3, v14
	v_sub_f16_e32 v14, v16, v19
	v_add_f16_e32 v16, v19, v16
	v_lshrrev_b32_e32 v19, 3, v11
	v_mul_u32_u24_e32 v19, 56, v19
	v_or_b32_e32 v9, v19, v9
	v_add_f16_e32 v6, v21, v17
	v_sub_f16_e32 v17, v17, v21
	v_lshl_add_u32 v9, v9, 2, 0
	v_pack_b32_f16 v4, v4, v13
	v_pack_b32_f16 v3, v5, v3
	;; [unrolled: 1-line block ×4, first 2 shown]
	ds_write2_b32 v9, v4, v3 offset0:32 offset1:40
	v_pack_b32_f16 v3, v17, v16
	ds_write2_b32 v9, v15, v6 offset1:8
	v_pack_b32_f16 v6, v20, v7
	v_pack_b32_f16 v7, v8, v18
	ds_write_b32 v9, v3 offset:192
	v_mul_u32_u24_e32 v3, 6, v11
	ds_write2_b32 v9, v6, v7 offset0:16 offset1:24
	v_lshlrev_b32_e32 v9, 2, v3
	s_waitcnt lgkmcnt(0)
	; wave barrier
	s_waitcnt lgkmcnt(0)
	global_load_dwordx4 v[3:6], v9, s[8:9] offset:192
	global_load_dwordx2 v[7:8], v9, s[8:9] offset:208
	ds_read2_b32 v[13:14], v10 offset0:112 offset1:168
	ds_read2_b32 v[15:16], v10 offset1:56
	ds_read2_b32 v[17:18], v2 offset0:96 offset1:152
	s_waitcnt lgkmcnt(2)
	v_lshrrev_b32_e32 v9, 16, v13
	s_waitcnt lgkmcnt(1)
	v_lshrrev_b32_e32 v20, 16, v16
	v_lshrrev_b32_e32 v19, 16, v14
	s_waitcnt lgkmcnt(0)
	v_lshrrev_b32_e32 v21, 16, v17
	s_waitcnt vmcnt(1)
	v_mul_f16_sdwa v22, v4, v9 dst_sel:DWORD dst_unused:UNUSED_PAD src0_sel:WORD_1 src1_sel:DWORD
	v_mul_f16_sdwa v23, v4, v13 dst_sel:DWORD dst_unused:UNUSED_PAD src0_sel:WORD_1 src1_sel:DWORD
	;; [unrolled: 1-line block ×4, first 2 shown]
	v_fma_f16 v13, v4, v13, -v22
	v_fma_f16 v4, v4, v9, v23
	v_fma_f16 v9, v3, v20, v26
	v_fma_f16 v3, v3, v16, -v27
	ds_read_b32 v16, v10 offset:1344
	v_mul_f16_sdwa v24, v5, v19 dst_sel:DWORD dst_unused:UNUSED_PAD src0_sel:WORD_1 src1_sel:DWORD
	v_mul_f16_sdwa v25, v5, v14 dst_sel:DWORD dst_unused:UNUSED_PAD src0_sel:WORD_1 src1_sel:DWORD
	;; [unrolled: 1-line block ×4, first 2 shown]
	v_fma_f16 v14, v5, v14, -v24
	v_fma_f16 v5, v5, v19, v25
	v_fma_f16 v19, v6, v21, v28
	v_fma_f16 v6, v6, v17, -v29
	v_lshrrev_b32_e32 v17, 16, v18
	s_waitcnt vmcnt(0)
	v_mul_f16_sdwa v20, v7, v17 dst_sel:DWORD dst_unused:UNUSED_PAD src0_sel:WORD_1 src1_sel:DWORD
	v_fma_f16 v20, v7, v18, -v20
	v_mul_f16_sdwa v18, v7, v18 dst_sel:DWORD dst_unused:UNUSED_PAD src0_sel:WORD_1 src1_sel:DWORD
	v_fma_f16 v7, v7, v17, v18
	s_waitcnt lgkmcnt(0)
	v_lshrrev_b32_e32 v17, 16, v16
	v_mul_f16_sdwa v18, v8, v17 dst_sel:DWORD dst_unused:UNUSED_PAD src0_sel:WORD_1 src1_sel:DWORD
	v_fma_f16 v18, v8, v16, -v18
	v_mul_f16_sdwa v16, v8, v16 dst_sel:DWORD dst_unused:UNUSED_PAD src0_sel:WORD_1 src1_sel:DWORD
	v_fma_f16 v8, v8, v17, v16
	v_add_f16_e32 v16, v3, v18
	v_add_f16_e32 v17, v9, v8
	v_sub_f16_e32 v3, v3, v18
	v_sub_f16_e32 v8, v9, v8
	v_add_f16_e32 v9, v13, v20
	v_add_f16_e32 v18, v4, v7
	v_sub_f16_e32 v4, v4, v7
	v_add_f16_e32 v7, v14, v6
	v_sub_f16_e32 v13, v13, v20
	;; [unrolled: 2-line block ×3, first 2 shown]
	v_sub_f16_e32 v5, v19, v5
	v_add_f16_e32 v14, v9, v16
	v_add_f16_e32 v19, v18, v17
	v_sub_f16_e32 v21, v9, v16
	v_sub_f16_e32 v16, v16, v7
	;; [unrolled: 1-line block ×3, first 2 shown]
	v_add_f16_e32 v7, v7, v14
	v_sub_f16_e32 v14, v18, v17
	v_sub_f16_e32 v17, v17, v20
	;; [unrolled: 1-line block ×3, first 2 shown]
	v_add_f16_e32 v19, v20, v19
	v_add_f16_e32 v20, v6, v13
	v_mul_f16_e32 v16, 0x3a52, v16
	v_mul_f16_e32 v24, 0x2b26, v9
	v_sub_f16_e32 v22, v6, v13
	v_sub_f16_e32 v6, v3, v6
	v_sub_f16_e32 v13, v13, v3
	v_add_f16_e32 v3, v20, v3
	v_add_f16_e32 v20, v5, v4
	v_fma_f16 v9, v9, s0, v16
	v_fma_f16 v24, v21, s1, -v24
	v_fma_f16 v16, v21, s4, -v16
	v_mul_f16_e32 v17, 0x3a52, v17
	v_mul_f16_e32 v21, 0x2b26, v18
	v_sub_f16_e32 v23, v5, v4
	v_sub_f16_e32 v5, v8, v5
	;; [unrolled: 1-line block ×3, first 2 shown]
	v_add_f16_e32 v8, v20, v8
	v_add_f16_e32 v20, v7, v15
	v_fma_f16 v18, v18, s0, v17
	v_fma_f16 v21, v14, s1, -v21
	v_fma_f16 v14, v14, s4, -v17
	v_mul_f16_e32 v17, 0xb846, v22
	v_mul_f16_e32 v22, 0x3b00, v13
	v_add_f16_sdwa v15, v19, v15 dst_sel:DWORD dst_unused:UNUSED_PAD src0_sel:DWORD src1_sel:WORD_1
	v_fma_f16 v13, v13, s7, -v17
	v_fma_f16 v17, v6, s10, v17
	v_fma_f16 v6, v6, s11, -v22
	v_mul_f16_e32 v22, 0xb846, v23
	v_mul_f16_e32 v23, 0x3b00, v4
	v_fma_f16 v7, v7, s5, v20
	v_fma_f16 v4, v4, s7, -v22
	v_fma_f16 v22, v5, s10, v22
	v_fma_f16 v5, v5, s11, -v23
	v_add_f16_e32 v9, v9, v7
	v_add_f16_e32 v23, v24, v7
	;; [unrolled: 1-line block ×3, first 2 shown]
	v_fma_f16 v16, v19, s5, v15
	v_add_f16_e32 v18, v18, v16
	v_add_f16_e32 v19, v21, v16
	;; [unrolled: 1-line block ×3, first 2 shown]
	v_fma_f16 v16, v3, s6, v17
	v_fma_f16 v17, v8, s6, v22
	;; [unrolled: 1-line block ×6, first 2 shown]
	v_add_f16_e32 v6, v17, v9
	v_sub_f16_e32 v8, v18, v16
	v_sub_f16_e32 v21, v23, v4
	v_add_f16_e32 v4, v4, v23
	v_add_f16_e32 v22, v13, v19
	v_sub_f16_e32 v13, v19, v13
	v_add_f16_e32 v19, v5, v7
	v_sub_f16_e32 v5, v7, v5
	v_sub_f16_e32 v7, v14, v3
	v_add_f16_e32 v3, v3, v14
	v_sub_f16_e32 v9, v9, v17
	v_add_f16_e32 v14, v16, v18
	v_pack_b32_f16 v15, v20, v15
	v_pack_b32_f16 v6, v6, v8
	;; [unrolled: 1-line block ×4, first 2 shown]
	s_waitcnt lgkmcnt(0)
	; wave barrier
	ds_write2_b32 v10, v15, v6 offset1:56
	v_pack_b32_f16 v6, v19, v7
	v_pack_b32_f16 v7, v21, v22
	ds_write2_b32 v2, v4, v3 offset0:96 offset1:152
	v_pack_b32_f16 v3, v9, v14
	ds_write2_b32 v10, v6, v7 offset0:112 offset1:168
	ds_write_b32 v10, v3 offset:1344
	s_waitcnt lgkmcnt(0)
	; wave barrier
	s_waitcnt lgkmcnt(0)
	s_and_saveexec_b64 s[0:1], vcc
	s_cbranch_execz .LBB0_15
; %bb.14:
	v_mad_u64_u32 v[3:4], s[0:1], s2, v11, 0
	v_mov_b32_e32 v7, s13
	v_add_co_u32_e32 v13, vcc, s12, v0
	v_mad_u64_u32 v[4:5], s[0:1], s3, v11, v[4:5]
	ds_read2_b32 v[5:6], v10 offset1:56
	v_addc_co_u32_e32 v14, vcc, v7, v1, vcc
	v_lshlrev_b64 v[0:1], 2, v[3:4]
	v_mad_u64_u32 v[3:4], s[0:1], s2, v12, 0
	v_add_co_u32_e32 v0, vcc, v13, v0
	s_waitcnt lgkmcnt(0)
	v_mad_u64_u32 v[7:8], s[0:1], s3, v12, v[4:5]
	v_add_u32_e32 v12, 0x70, v11
	v_mad_u64_u32 v[8:9], s[0:1], s2, v12, 0
	v_addc_co_u32_e32 v1, vcc, v14, v1, vcc
	v_mov_b32_e32 v4, v7
	global_store_dword v[0:1], v5, off
	v_lshlrev_b64 v[0:1], 2, v[3:4]
	v_mov_b32_e32 v3, v9
	v_add_co_u32_e32 v0, vcc, v13, v0
	v_mad_u64_u32 v[3:4], s[0:1], s3, v12, v[3:4]
	v_addc_co_u32_e32 v1, vcc, v14, v1, vcc
	v_add_u32_e32 v7, 0xa8, v11
	global_store_dword v[0:1], v6, off
	v_mad_u64_u32 v[5:6], s[0:1], s2, v7, 0
	v_mov_b32_e32 v9, v3
	ds_read2_b32 v[0:1], v10 offset0:112 offset1:168
	v_lshlrev_b64 v[3:4], 2, v[8:9]
	v_mad_u64_u32 v[6:7], s[0:1], s3, v7, v[6:7]
	v_add_u32_e32 v9, 0xe0, v11
	v_mad_u64_u32 v[7:8], s[0:1], s2, v9, 0
	v_add_co_u32_e32 v3, vcc, v13, v3
	v_addc_co_u32_e32 v4, vcc, v14, v4, vcc
	s_waitcnt lgkmcnt(0)
	global_store_dword v[3:4], v0, off
	v_mov_b32_e32 v0, v8
	v_lshlrev_b64 v[3:4], 2, v[5:6]
	v_mad_u64_u32 v[5:6], s[0:1], s3, v9, v[0:1]
	v_add_co_u32_e32 v3, vcc, v13, v3
	v_addc_co_u32_e32 v4, vcc, v14, v4, vcc
	v_add_u32_e32 v6, 0x118, v11
	global_store_dword v[3:4], v1, off
	v_mov_b32_e32 v8, v5
	v_mad_u64_u32 v[4:5], s[0:1], s2, v6, 0
	ds_read2_b32 v[0:1], v2 offset0:96 offset1:152
	v_lshlrev_b64 v[2:3], 2, v[7:8]
	v_mad_u64_u32 v[5:6], s[0:1], s3, v6, v[5:6]
	v_add_u32_e32 v8, 0x150, v11
	v_mad_u64_u32 v[6:7], s[0:1], s2, v8, 0
	v_add_co_u32_e32 v2, vcc, v13, v2
	v_addc_co_u32_e32 v3, vcc, v14, v3, vcc
	s_waitcnt lgkmcnt(0)
	global_store_dword v[2:3], v0, off
	v_mov_b32_e32 v0, v7
	v_lshlrev_b64 v[2:3], 2, v[4:5]
	v_mad_u64_u32 v[4:5], s[0:1], s3, v8, v[0:1]
	v_add_co_u32_e32 v2, vcc, v13, v2
	v_addc_co_u32_e32 v3, vcc, v14, v3, vcc
	global_store_dword v[2:3], v1, off
	v_mov_b32_e32 v7, v4
	ds_read_b32 v2, v10 offset:1344
	v_lshlrev_b64 v[0:1], 2, v[6:7]
	v_add_co_u32_e32 v0, vcc, v13, v0
	v_addc_co_u32_e32 v1, vcc, v14, v1, vcc
	s_waitcnt lgkmcnt(0)
	global_store_dword v[0:1], v2, off
.LBB0_15:
	s_endpgm
	.section	.rodata,"a",@progbits
	.p2align	6, 0x0
	.amdhsa_kernel fft_rtc_fwd_len392_factors_8_7_7_wgs_56_tpt_56_half_ip_CI_sbrr_dirReg
		.amdhsa_group_segment_fixed_size 0
		.amdhsa_private_segment_fixed_size 0
		.amdhsa_kernarg_size 88
		.amdhsa_user_sgpr_count 6
		.amdhsa_user_sgpr_private_segment_buffer 1
		.amdhsa_user_sgpr_dispatch_ptr 0
		.amdhsa_user_sgpr_queue_ptr 0
		.amdhsa_user_sgpr_kernarg_segment_ptr 1
		.amdhsa_user_sgpr_dispatch_id 0
		.amdhsa_user_sgpr_flat_scratch_init 0
		.amdhsa_user_sgpr_private_segment_size 0
		.amdhsa_uses_dynamic_stack 0
		.amdhsa_system_sgpr_private_segment_wavefront_offset 0
		.amdhsa_system_sgpr_workgroup_id_x 1
		.amdhsa_system_sgpr_workgroup_id_y 0
		.amdhsa_system_sgpr_workgroup_id_z 0
		.amdhsa_system_sgpr_workgroup_info 0
		.amdhsa_system_vgpr_workitem_id 0
		.amdhsa_next_free_vgpr 35
		.amdhsa_next_free_sgpr 24
		.amdhsa_reserve_vcc 1
		.amdhsa_reserve_flat_scratch 0
		.amdhsa_float_round_mode_32 0
		.amdhsa_float_round_mode_16_64 0
		.amdhsa_float_denorm_mode_32 3
		.amdhsa_float_denorm_mode_16_64 3
		.amdhsa_dx10_clamp 1
		.amdhsa_ieee_mode 1
		.amdhsa_fp16_overflow 0
		.amdhsa_exception_fp_ieee_invalid_op 0
		.amdhsa_exception_fp_denorm_src 0
		.amdhsa_exception_fp_ieee_div_zero 0
		.amdhsa_exception_fp_ieee_overflow 0
		.amdhsa_exception_fp_ieee_underflow 0
		.amdhsa_exception_fp_ieee_inexact 0
		.amdhsa_exception_int_div_zero 0
	.end_amdhsa_kernel
	.text
.Lfunc_end0:
	.size	fft_rtc_fwd_len392_factors_8_7_7_wgs_56_tpt_56_half_ip_CI_sbrr_dirReg, .Lfunc_end0-fft_rtc_fwd_len392_factors_8_7_7_wgs_56_tpt_56_half_ip_CI_sbrr_dirReg
                                        ; -- End function
	.section	.AMDGPU.csdata,"",@progbits
; Kernel info:
; codeLenInByte = 4260
; NumSgprs: 28
; NumVgprs: 35
; ScratchSize: 0
; MemoryBound: 0
; FloatMode: 240
; IeeeMode: 1
; LDSByteSize: 0 bytes/workgroup (compile time only)
; SGPRBlocks: 3
; VGPRBlocks: 8
; NumSGPRsForWavesPerEU: 28
; NumVGPRsForWavesPerEU: 35
; Occupancy: 7
; WaveLimiterHint : 1
; COMPUTE_PGM_RSRC2:SCRATCH_EN: 0
; COMPUTE_PGM_RSRC2:USER_SGPR: 6
; COMPUTE_PGM_RSRC2:TRAP_HANDLER: 0
; COMPUTE_PGM_RSRC2:TGID_X_EN: 1
; COMPUTE_PGM_RSRC2:TGID_Y_EN: 0
; COMPUTE_PGM_RSRC2:TGID_Z_EN: 0
; COMPUTE_PGM_RSRC2:TIDIG_COMP_CNT: 0
	.type	__hip_cuid_808d53df631d5a18,@object ; @__hip_cuid_808d53df631d5a18
	.section	.bss,"aw",@nobits
	.globl	__hip_cuid_808d53df631d5a18
__hip_cuid_808d53df631d5a18:
	.byte	0                               ; 0x0
	.size	__hip_cuid_808d53df631d5a18, 1

	.ident	"AMD clang version 19.0.0git (https://github.com/RadeonOpenCompute/llvm-project roc-6.4.0 25133 c7fe45cf4b819c5991fe208aaa96edf142730f1d)"
	.section	".note.GNU-stack","",@progbits
	.addrsig
	.addrsig_sym __hip_cuid_808d53df631d5a18
	.amdgpu_metadata
---
amdhsa.kernels:
  - .args:
      - .actual_access:  read_only
        .address_space:  global
        .offset:         0
        .size:           8
        .value_kind:     global_buffer
      - .offset:         8
        .size:           8
        .value_kind:     by_value
      - .actual_access:  read_only
        .address_space:  global
        .offset:         16
        .size:           8
        .value_kind:     global_buffer
      - .actual_access:  read_only
        .address_space:  global
        .offset:         24
        .size:           8
        .value_kind:     global_buffer
      - .offset:         32
        .size:           8
        .value_kind:     by_value
      - .actual_access:  read_only
        .address_space:  global
        .offset:         40
        .size:           8
        .value_kind:     global_buffer
      - .actual_access:  read_only
        .address_space:  global
        .offset:         48
        .size:           8
        .value_kind:     global_buffer
      - .offset:         56
        .size:           4
        .value_kind:     by_value
      - .actual_access:  read_only
        .address_space:  global
        .offset:         64
        .size:           8
        .value_kind:     global_buffer
      - .actual_access:  read_only
        .address_space:  global
        .offset:         72
        .size:           8
        .value_kind:     global_buffer
      - .address_space:  global
        .offset:         80
        .size:           8
        .value_kind:     global_buffer
    .group_segment_fixed_size: 0
    .kernarg_segment_align: 8
    .kernarg_segment_size: 88
    .language:       OpenCL C
    .language_version:
      - 2
      - 0
    .max_flat_workgroup_size: 56
    .name:           fft_rtc_fwd_len392_factors_8_7_7_wgs_56_tpt_56_half_ip_CI_sbrr_dirReg
    .private_segment_fixed_size: 0
    .sgpr_count:     28
    .sgpr_spill_count: 0
    .symbol:         fft_rtc_fwd_len392_factors_8_7_7_wgs_56_tpt_56_half_ip_CI_sbrr_dirReg.kd
    .uniform_work_group_size: 1
    .uses_dynamic_stack: false
    .vgpr_count:     35
    .vgpr_spill_count: 0
    .wavefront_size: 64
amdhsa.target:   amdgcn-amd-amdhsa--gfx906
amdhsa.version:
  - 1
  - 2
...

	.end_amdgpu_metadata
